;; amdgpu-corpus repo=ROCm/rocFFT kind=compiled arch=gfx1030 opt=O3
	.text
	.amdgcn_target "amdgcn-amd-amdhsa--gfx1030"
	.amdhsa_code_object_version 6
	.protected	fft_rtc_back_len343_factors_7_7_7_wgs_245_tpt_49_dp_ip_CI_sbcc_twdbase6_3step_dirReg_intrinsicRead ; -- Begin function fft_rtc_back_len343_factors_7_7_7_wgs_245_tpt_49_dp_ip_CI_sbcc_twdbase6_3step_dirReg_intrinsicRead
	.globl	fft_rtc_back_len343_factors_7_7_7_wgs_245_tpt_49_dp_ip_CI_sbcc_twdbase6_3step_dirReg_intrinsicRead
	.p2align	8
	.type	fft_rtc_back_len343_factors_7_7_7_wgs_245_tpt_49_dp_ip_CI_sbcc_twdbase6_3step_dirReg_intrinsicRead,@function
fft_rtc_back_len343_factors_7_7_7_wgs_245_tpt_49_dp_ip_CI_sbcc_twdbase6_3step_dirReg_intrinsicRead: ; @fft_rtc_back_len343_factors_7_7_7_wgs_245_tpt_49_dp_ip_CI_sbcc_twdbase6_3step_dirReg_intrinsicRead
; %bb.0:
	s_load_dwordx8 s[8:15], s[4:5], 0x8
	s_mov_b32 s0, exec_lo
	v_cmpx_gt_u32_e32 0xc0, v0
	s_cbranch_execz .LBB0_2
; %bb.1:
	v_lshlrev_b32_e32 v5, 4, v0
	s_waitcnt lgkmcnt(0)
	global_load_dwordx4 v[1:4], v5, s[8:9]
	v_add3_u32 v5, 0, v5, 0x6b30
	s_waitcnt vmcnt(0)
	ds_write2_b64 v5, v[1:2], v[3:4] offset1:1
.LBB0_2:
	s_or_b32 exec_lo, exec_lo, s0
	s_waitcnt lgkmcnt(0)
	s_load_dwordx2 s[16:17], s[12:13], 0x8
	s_waitcnt lgkmcnt(0)
	s_add_u32 s0, s16, -1
	s_addc_u32 s1, s17, -1
	s_add_u32 s2, 0, 0x3330c000
	s_addc_u32 s3, 0, 0xb3
	s_mul_hi_u32 s8, s2, -5
	s_add_i32 s3, s3, 0x33333280
	s_sub_i32 s8, s8, s2
	s_mul_i32 s18, s3, -5
	s_mul_i32 s7, s2, -5
	s_add_i32 s8, s8, s18
	s_mul_hi_u32 s9, s2, s7
	s_mul_i32 s20, s2, s8
	s_mul_hi_u32 s18, s2, s8
	s_mul_hi_u32 s19, s3, s7
	s_mul_i32 s7, s3, s7
	s_add_u32 s9, s9, s20
	s_addc_u32 s18, 0, s18
	s_mul_hi_u32 s21, s3, s8
	s_add_u32 s7, s9, s7
	s_mul_i32 s8, s3, s8
	s_addc_u32 s7, s18, s19
	s_addc_u32 s9, s21, 0
	s_add_u32 s7, s7, s8
	v_add_co_u32 v1, s2, s2, s7
	s_addc_u32 s7, 0, s9
	s_cmp_lg_u32 s2, 0
	s_addc_u32 s2, s3, s7
	v_readfirstlane_b32 s3, v1
	s_mul_i32 s8, s0, s2
	s_mul_hi_u32 s7, s0, s2
	s_mul_hi_u32 s9, s1, s2
	s_mul_i32 s2, s1, s2
	s_mul_hi_u32 s18, s0, s3
	s_mul_hi_u32 s19, s1, s3
	s_mul_i32 s3, s1, s3
	s_add_u32 s8, s18, s8
	s_addc_u32 s7, 0, s7
	s_add_u32 s3, s8, s3
	s_addc_u32 s3, s7, s19
	s_addc_u32 s7, s9, 0
	s_add_u32 s2, s3, s2
	s_addc_u32 s3, 0, s7
	s_mul_i32 s8, s2, 5
	s_add_u32 s7, s2, 1
	v_sub_co_u32 v1, s0, s0, s8
	s_mul_hi_u32 s8, s2, 5
	s_addc_u32 s9, s3, 0
	s_mul_i32 s18, s3, 5
	v_sub_co_u32 v2, s19, v1, 5
	s_add_u32 s20, s2, 2
	s_addc_u32 s21, s3, 0
	s_add_i32 s8, s8, s18
	s_cmp_lg_u32 s0, 0
	v_readfirstlane_b32 s0, v2
	s_subb_u32 s1, s1, s8
	s_cmp_lg_u32 s19, 0
	s_mov_b64 s[18:19], 0
	s_subb_u32 s8, s1, 0
	s_cmp_gt_u32 s0, 4
	s_cselect_b32 s0, -1, 0
	s_cmp_eq_u32 s8, 0
	v_readfirstlane_b32 s8, v1
	s_cselect_b32 s0, s0, -1
	s_cmp_lg_u32 s0, 0
	s_cselect_b32 s0, s20, s7
	s_cselect_b32 s9, s21, s9
	s_cmp_gt_u32 s8, 4
	s_cselect_b32 s7, -1, 0
	s_cmp_eq_u32 s1, 0
	s_cselect_b32 s1, s7, -1
	s_mov_b32 s7, 0
	s_cmp_lg_u32 s1, 0
	s_cselect_b32 s0, s0, s2
	s_cselect_b32 s1, s9, s3
	s_add_u32 s20, s0, 1
	s_addc_u32 s21, s1, 0
	v_cmp_lt_u64_e64 s0, s[6:7], s[20:21]
	s_and_b32 vcc_lo, exec_lo, s0
	s_cbranch_vccnz .LBB0_4
; %bb.3:
	v_cvt_f32_u32_e32 v1, s20
	s_sub_i32 s1, 0, s20
	s_mov_b32 s19, s7
	v_rcp_iflag_f32_e32 v1, v1
	v_mul_f32_e32 v1, 0x4f7ffffe, v1
	v_cvt_u32_f32_e32 v1, v1
	v_readfirstlane_b32 s0, v1
	s_mul_i32 s1, s1, s0
	s_mul_hi_u32 s1, s0, s1
	s_add_i32 s0, s0, s1
	s_mul_hi_u32 s0, s6, s0
	s_mul_i32 s1, s0, s20
	s_add_i32 s2, s0, 1
	s_sub_i32 s1, s6, s1
	s_sub_i32 s3, s1, s20
	s_cmp_ge_u32 s1, s20
	s_cselect_b32 s0, s2, s0
	s_cselect_b32 s1, s3, s1
	s_add_i32 s2, s0, 1
	s_cmp_ge_u32 s1, s20
	s_cselect_b32 s18, s2, s0
.LBB0_4:
	s_load_dwordx4 s[0:3], s[14:15], 0x0
	s_clause 0x1
	s_load_dwordx2 s[8:9], s[4:5], 0x58
	s_load_dwordx2 s[4:5], s[4:5], 0x0
	s_mul_i32 s22, s18, s21
	s_mul_hi_u32 s23, s18, s20
	s_mul_i32 s24, s18, s20
	s_add_i32 s23, s23, s22
	s_sub_u32 s34, s6, s24
	s_subb_u32 s22, 0, s23
	s_mul_hi_u32 s33, s34, 5
	s_mul_i32 s22, s22, 5
	v_cmp_lt_u64_e64 s25, s[10:11], 3
	s_mul_i32 s34, s34, 5
	s_add_i32 s33, s33, s22
	s_and_b32 vcc_lo, exec_lo, s25
	s_waitcnt lgkmcnt(0)
	s_mul_i32 s22, s2, s33
	s_mul_hi_u32 s23, s2, s34
	s_mul_i32 s24, s3, s34
	s_add_i32 s22, s23, s22
	s_mul_i32 s35, s2, s34
	s_add_i32 s36, s22, s24
	s_cbranch_vccnz .LBB0_14
; %bb.5:
	s_add_u32 s22, s14, 16
	s_addc_u32 s23, s15, 0
	s_add_u32 s12, s12, 16
	s_addc_u32 s13, s13, 0
	s_mov_b64 s[24:25], 2
	s_mov_b32 s26, 0
.LBB0_6:                                ; =>This Inner Loop Header: Depth=1
	s_load_dwordx2 s[28:29], s[12:13], 0x0
	s_waitcnt lgkmcnt(0)
	s_or_b64 s[30:31], s[18:19], s[28:29]
	s_mov_b32 s27, s31
                                        ; implicit-def: $sgpr30_sgpr31
	s_cmp_lg_u64 s[26:27], 0
	s_mov_b32 s27, -1
	s_cbranch_scc0 .LBB0_8
; %bb.7:                                ;   in Loop: Header=BB0_6 Depth=1
	v_cvt_f32_u32_e32 v1, s28
	v_cvt_f32_u32_e32 v2, s29
	s_sub_u32 s31, 0, s28
	s_subb_u32 s37, 0, s29
	v_fmac_f32_e32 v1, 0x4f800000, v2
	v_rcp_f32_e32 v1, v1
	v_mul_f32_e32 v1, 0x5f7ffffc, v1
	v_mul_f32_e32 v2, 0x2f800000, v1
	v_trunc_f32_e32 v2, v2
	v_fmac_f32_e32 v1, 0xcf800000, v2
	v_cvt_u32_f32_e32 v2, v2
	v_cvt_u32_f32_e32 v1, v1
	v_readfirstlane_b32 s27, v2
	v_readfirstlane_b32 s30, v1
	s_mul_i32 s38, s31, s27
	s_mul_hi_u32 s40, s31, s30
	s_mul_i32 s39, s37, s30
	s_add_i32 s38, s40, s38
	s_mul_i32 s41, s31, s30
	s_add_i32 s38, s38, s39
	s_mul_hi_u32 s40, s30, s41
	s_mul_hi_u32 s42, s27, s41
	s_mul_i32 s39, s27, s41
	s_mul_hi_u32 s41, s30, s38
	s_mul_i32 s30, s30, s38
	s_mul_hi_u32 s43, s27, s38
	s_add_u32 s30, s40, s30
	s_addc_u32 s40, 0, s41
	s_add_u32 s30, s30, s39
	s_mul_i32 s38, s27, s38
	s_addc_u32 s30, s40, s42
	s_addc_u32 s39, s43, 0
	s_add_u32 s30, s30, s38
	s_addc_u32 s38, 0, s39
	v_add_co_u32 v1, s30, v1, s30
	s_cmp_lg_u32 s30, 0
	s_addc_u32 s27, s27, s38
	v_readfirstlane_b32 s30, v1
	s_mul_i32 s38, s31, s27
	s_mul_hi_u32 s39, s31, s30
	s_mul_i32 s37, s37, s30
	s_add_i32 s38, s39, s38
	s_mul_i32 s31, s31, s30
	s_add_i32 s38, s38, s37
	s_mul_hi_u32 s39, s27, s31
	s_mul_i32 s40, s27, s31
	s_mul_hi_u32 s31, s30, s31
	s_mul_hi_u32 s41, s30, s38
	s_mul_i32 s30, s30, s38
	s_mul_hi_u32 s37, s27, s38
	s_add_u32 s30, s31, s30
	s_addc_u32 s31, 0, s41
	s_add_u32 s30, s30, s40
	s_mul_i32 s38, s27, s38
	s_addc_u32 s30, s31, s39
	s_addc_u32 s31, s37, 0
	s_add_u32 s30, s30, s38
	s_addc_u32 s31, 0, s31
	v_add_co_u32 v1, s30, v1, s30
	s_cmp_lg_u32 s30, 0
	s_addc_u32 s27, s27, s31
	v_readfirstlane_b32 s30, v1
	s_mul_i32 s37, s18, s27
	s_mul_hi_u32 s31, s18, s27
	s_mul_hi_u32 s38, s19, s27
	s_mul_i32 s27, s19, s27
	s_mul_hi_u32 s39, s18, s30
	s_mul_hi_u32 s40, s19, s30
	s_mul_i32 s30, s19, s30
	s_add_u32 s37, s39, s37
	s_addc_u32 s31, 0, s31
	s_add_u32 s30, s37, s30
	s_addc_u32 s30, s31, s40
	s_addc_u32 s31, s38, 0
	s_add_u32 s30, s30, s27
	s_addc_u32 s31, 0, s31
	s_mul_hi_u32 s27, s28, s30
	s_mul_i32 s38, s28, s31
	s_mul_i32 s39, s28, s30
	s_add_i32 s27, s27, s38
	v_sub_co_u32 v1, s38, s18, s39
	s_mul_i32 s37, s29, s30
	s_add_i32 s27, s27, s37
	v_sub_co_u32 v2, s39, v1, s28
	s_sub_i32 s37, s19, s27
	s_cmp_lg_u32 s38, 0
	s_subb_u32 s37, s37, s29
	s_cmp_lg_u32 s39, 0
	v_readfirstlane_b32 s39, v2
	s_subb_u32 s37, s37, 0
	s_cmp_ge_u32 s37, s29
	s_cselect_b32 s40, -1, 0
	s_cmp_ge_u32 s39, s28
	s_cselect_b32 s39, -1, 0
	s_cmp_eq_u32 s37, s29
	s_cselect_b32 s37, s39, s40
	s_add_u32 s39, s30, 1
	s_addc_u32 s40, s31, 0
	s_add_u32 s41, s30, 2
	s_addc_u32 s42, s31, 0
	s_cmp_lg_u32 s37, 0
	s_cselect_b32 s37, s41, s39
	s_cselect_b32 s39, s42, s40
	s_cmp_lg_u32 s38, 0
	v_readfirstlane_b32 s38, v1
	s_subb_u32 s27, s19, s27
	s_cmp_ge_u32 s27, s29
	s_cselect_b32 s40, -1, 0
	s_cmp_ge_u32 s38, s28
	s_cselect_b32 s38, -1, 0
	s_cmp_eq_u32 s27, s29
	s_cselect_b32 s27, s38, s40
	s_cmp_lg_u32 s27, 0
	s_mov_b32 s27, 0
	s_cselect_b32 s31, s39, s31
	s_cselect_b32 s30, s37, s30
.LBB0_8:                                ;   in Loop: Header=BB0_6 Depth=1
	s_andn2_b32 vcc_lo, exec_lo, s27
	s_cbranch_vccnz .LBB0_10
; %bb.9:                                ;   in Loop: Header=BB0_6 Depth=1
	v_cvt_f32_u32_e32 v1, s28
	s_sub_i32 s30, 0, s28
	v_rcp_iflag_f32_e32 v1, v1
	v_mul_f32_e32 v1, 0x4f7ffffe, v1
	v_cvt_u32_f32_e32 v1, v1
	v_readfirstlane_b32 s27, v1
	s_mul_i32 s30, s30, s27
	s_mul_hi_u32 s30, s27, s30
	s_add_i32 s27, s27, s30
	s_mul_hi_u32 s27, s18, s27
	s_mul_i32 s30, s27, s28
	s_add_i32 s31, s27, 1
	s_sub_i32 s30, s18, s30
	s_sub_i32 s37, s30, s28
	s_cmp_ge_u32 s30, s28
	s_cselect_b32 s27, s31, s27
	s_cselect_b32 s30, s37, s30
	s_add_i32 s31, s27, 1
	s_cmp_ge_u32 s30, s28
	s_cselect_b32 s30, s31, s27
	s_mov_b32 s31, s26
.LBB0_10:                               ;   in Loop: Header=BB0_6 Depth=1
	s_load_dwordx2 s[38:39], s[22:23], 0x0
	s_mul_i32 s21, s28, s21
	s_mul_hi_u32 s27, s28, s20
	s_mul_i32 s37, s29, s20
	s_mul_i32 s29, s30, s29
	s_mul_hi_u32 s40, s30, s28
	s_mul_i32 s41, s31, s28
	s_add_i32 s21, s27, s21
	s_add_i32 s27, s40, s29
	s_mul_i32 s42, s30, s28
	s_add_i32 s21, s21, s37
	s_add_i32 s27, s27, s41
	s_sub_u32 s18, s18, s42
	s_subb_u32 s19, s19, s27
	s_mul_i32 s20, s28, s20
	s_waitcnt lgkmcnt(0)
	s_mul_i32 s19, s38, s19
	s_mul_hi_u32 s27, s38, s18
	s_add_i32 s19, s27, s19
	s_mul_i32 s27, s39, s18
	s_mul_i32 s18, s38, s18
	s_add_i32 s19, s19, s27
	s_add_u32 s35, s18, s35
	s_addc_u32 s36, s19, s36
	s_add_u32 s24, s24, 1
	s_addc_u32 s25, s25, 0
	s_add_u32 s22, s22, 8
	v_cmp_ge_u64_e64 s18, s[24:25], s[10:11]
	s_addc_u32 s23, s23, 0
	s_add_u32 s12, s12, 8
	s_addc_u32 s13, s13, 0
	s_and_b32 vcc_lo, exec_lo, s18
	s_cbranch_vccnz .LBB0_12
; %bb.11:                               ;   in Loop: Header=BB0_6 Depth=1
	s_mov_b64 s[18:19], s[30:31]
	s_branch .LBB0_6
.LBB0_12:
	v_cmp_lt_u64_e64 s7, s[6:7], s[20:21]
	s_mov_b64 s[18:19], 0
	s_and_b32 vcc_lo, exec_lo, s7
	s_cbranch_vccnz .LBB0_14
; %bb.13:
	v_cvt_f32_u32_e32 v1, s20
	s_sub_i32 s12, 0, s20
	v_rcp_iflag_f32_e32 v1, v1
	v_mul_f32_e32 v1, 0x4f7ffffe, v1
	v_cvt_u32_f32_e32 v1, v1
	v_readfirstlane_b32 s7, v1
	s_mul_i32 s12, s12, s7
	s_mul_hi_u32 s12, s7, s12
	s_add_i32 s7, s7, s12
	s_mul_hi_u32 s7, s6, s7
	s_mul_i32 s12, s7, s20
	s_sub_i32 s6, s6, s12
	s_add_i32 s12, s7, 1
	s_sub_i32 s13, s6, s20
	s_cmp_ge_u32 s6, s20
	s_cselect_b32 s7, s12, s7
	s_cselect_b32 s6, s13, s6
	s_add_i32 s12, s7, 1
	s_cmp_ge_u32 s6, s20
	s_cselect_b32 s18, s12, s7
.LBB0_14:
	s_lshl_b64 s[6:7], s[10:11], 3
	v_mul_hi_u32 v3, 0x33333334, v0
	s_add_u32 s6, s14, s6
	s_addc_u32 s7, s15, s7
	s_mov_b32 s11, 0x31014000
	s_load_dwordx2 s[6:7], s[6:7], 0x0
	s_mov_b32 s10, -2
	s_mov_b32 s14, 0x36b3c0b5
	s_mov_b32 s15, 0x3fac98ee
	v_mul_u32_u24_e32 v1, 5, v3
	v_add_nc_u32_e32 v5, 0x62, v3
	v_add_nc_u32_e32 v6, 0xf5, v3
	v_add_nc_u32_e32 v2, 49, v3
	v_add_nc_u32_e32 v8, 0x126, v3
	v_sub_nc_u32_e32 v7, v0, v1
	v_mul_lo_u32 v10, s0, v5
	v_mul_lo_u32 v11, s0, v6
	;; [unrolled: 1-line block ×4, first 2 shown]
	v_mad_u64_u32 v[5:6], null, s2, v7, 0
	v_add_co_u32 v1, s12, s34, v7
	v_add_co_ci_u32_e64 v2, null, s33, 0, s12
	s_waitcnt lgkmcnt(0)
	s_mul_i32 s2, s7, s18
	s_mul_hi_u32 s7, s6, s18
	s_mul_i32 s6, s6, s18
	s_add_i32 s7, s7, s2
	s_add_u32 s6, s6, s35
	v_mul_lo_u32 v8, s0, v8
	s_addc_u32 s7, s7, s36
	s_add_u32 s12, s34, 5
	s_addc_u32 s13, s33, 0
	v_cmp_gt_u64_e32 vcc_lo, s[16:17], v[1:2]
	v_cmp_le_u64_e64 s2, s[12:13], s[16:17]
	v_add_lshl_u32 v2, v5, v4, 4
	v_add_lshl_u32 v4, v5, v9, 4
	;; [unrolled: 1-line block ×5, first 2 shown]
	s_or_b32 vcc_lo, s2, vcc_lo
	v_add_nc_u32_e32 v11, 0xc4, v3
	v_cndmask_b32_e32 v4, -1, v4, vcc_lo
	v_add_nc_u32_e32 v12, 0x93, v3
	v_cndmask_b32_e32 v13, -1, v8, vcc_lo
	v_cndmask_b32_e32 v16, -1, v9, vcc_lo
	s_lshl_b32 s12, s6, 4
	v_cndmask_b32_e32 v20, -1, v10, vcc_lo
	v_mul_lo_u32 v24, s0, v11
	v_mul_lo_u32 v25, s0, v12
	s_clause 0x3
	buffer_load_dwordx4 v[8:11], v4, s[8:11], s12 offen
	buffer_load_dwordx4 v[12:15], v13, s[8:11], s12 offen
	;; [unrolled: 1-line block ×4, first 2 shown]
	v_cndmask_b32_e32 v2, -1, v2, vcc_lo
	s_mov_b32 s16, 0xe976ee23
	s_mov_b32 s17, 0x3fe11646
	;; [unrolled: 1-line block ×4, first 2 shown]
	v_add_lshl_u32 v4, v5, v24, 4
	v_add_lshl_u32 v24, v5, v25, 4
	s_mov_b32 s26, 0xb247c609
	s_mov_b32 s22, 0x5476071b
	;; [unrolled: 1-line block ×3, first 2 shown]
	v_cndmask_b32_e32 v4, -1, v4, vcc_lo
	v_cndmask_b32_e32 v28, -1, v24, vcc_lo
	s_clause 0x2
	buffer_load_dwordx4 v[24:27], v4, s[8:11], s12 offen
	buffer_load_dwordx4 v[28:31], v28, s[8:11], s12 offen
	buffer_load_dwordx4 v[32:35], v2, s[8:11], s12 offen
	s_mov_b32 s12, 0x37e14327
	s_mov_b32 s13, 0x3fe948f6
	;; [unrolled: 1-line block ×11, first 2 shown]
	v_mul_hi_u32 v2, 0x24924925, v3
	v_mul_u32_u24_e32 v4, 0x230, v3
	v_lshlrev_b32_e32 v73, 4, v7
	v_add3_u32 v4, 0, v4, v73
	v_mul_u32_u24_e32 v2, 7, v2
	v_sub_nc_u32_e32 v2, v3, v2
	s_waitcnt vmcnt(5)
	v_add_f64 v[36:37], v[8:9], v[12:13]
	v_add_f64 v[38:39], v[10:11], v[14:15]
	s_waitcnt vmcnt(3)
	v_add_f64 v[40:41], v[16:17], v[20:21]
	v_add_f64 v[42:43], v[18:19], v[22:23]
	v_add_f64 v[16:17], v[16:17], -v[20:21]
	v_add_f64 v[18:19], v[18:19], -v[22:23]
	;; [unrolled: 1-line block ×4, first 2 shown]
	s_waitcnt vmcnt(1)
	v_add_f64 v[20:21], v[28:29], v[24:25]
	v_add_f64 v[22:23], v[30:31], v[26:27]
	v_add_f64 v[24:25], v[24:25], -v[28:29]
	v_add_f64 v[26:27], v[26:27], -v[30:31]
	v_add_f64 v[8:9], v[40:41], v[36:37]
	v_add_f64 v[10:11], v[42:43], v[38:39]
	v_add_f64 v[48:49], v[16:17], -v[12:13]
	v_add_f64 v[50:51], v[18:19], -v[14:15]
	;; [unrolled: 1-line block ×6, first 2 shown]
	v_add_f64 v[16:17], v[24:25], v[16:17]
	v_add_f64 v[18:19], v[26:27], v[18:19]
	v_add_f64 v[24:25], v[12:13], -v[24:25]
	v_add_f64 v[52:53], v[20:21], v[8:9]
	v_add_f64 v[54:55], v[22:23], v[10:11]
	v_add_f64 v[20:21], v[20:21], -v[40:41]
	v_add_f64 v[22:23], v[22:23], -v[42:43]
	;; [unrolled: 1-line block ×3, first 2 shown]
	v_mul_f64 v[56:57], v[48:49], s[18:19]
	v_mul_f64 v[58:59], v[50:51], s[18:19]
	;; [unrolled: 1-line block ×6, first 2 shown]
	v_add_f64 v[12:13], v[16:17], v[12:13]
	v_add_f64 v[14:15], v[18:19], v[14:15]
	s_waitcnt vmcnt(0)
	v_add_f64 v[8:9], v[32:33], v[52:53]
	v_add_f64 v[10:11], v[34:35], v[54:55]
	v_add_f64 v[32:33], v[40:41], -v[36:37]
	v_add_f64 v[34:35], v[42:43], -v[38:39]
	v_mul_f64 v[36:37], v[20:21], s[14:15]
	v_mul_f64 v[38:39], v[22:23], s[14:15]
	v_fma_f64 v[16:17], v[20:21], s[14:15], v[28:29]
	v_fma_f64 v[18:19], v[22:23], s[14:15], v[30:31]
	;; [unrolled: 1-line block ×4, first 2 shown]
	v_fma_f64 v[40:41], v[48:49], s[18:19], -v[44:45]
	v_fma_f64 v[42:43], v[50:51], s[18:19], -v[46:47]
	;; [unrolled: 1-line block ×3, first 2 shown]
	v_fma_f64 v[44:45], v[52:53], s[10:11], v[8:9]
	v_fma_f64 v[46:47], v[54:55], s[10:11], v[10:11]
	v_fma_f64 v[26:27], v[26:27], s[28:29], -v[58:59]
	v_fma_f64 v[28:29], v[32:33], s[24:25], -v[28:29]
	;; [unrolled: 1-line block ×5, first 2 shown]
	v_fma_f64 v[36:37], v[12:13], s[20:21], v[20:21]
	v_fma_f64 v[38:39], v[14:15], s[20:21], v[22:23]
	;; [unrolled: 1-line block ×5, first 2 shown]
	v_add_f64 v[52:53], v[16:17], v[44:45]
	v_add_f64 v[54:55], v[18:19], v[46:47]
	v_fma_f64 v[50:51], v[14:15], s[20:21], v[26:27]
	v_add_f64 v[28:29], v[28:29], v[44:45]
	v_add_f64 v[30:31], v[30:31], v[46:47]
	;; [unrolled: 1-line block ×5, first 2 shown]
	v_add_f64 v[14:15], v[54:55], -v[36:37]
	v_add_f64 v[32:33], v[52:53], -v[38:39]
	v_add_f64 v[16:17], v[50:51], v[28:29]
	v_add_f64 v[18:19], v[30:31], -v[48:49]
	v_add_f64 v[20:21], v[24:25], -v[42:43]
	v_add_f64 v[22:23], v[40:41], v[26:27]
	v_add_f64 v[24:25], v[42:43], v[24:25]
	v_add_f64 v[26:27], v[26:27], -v[40:41]
	v_add_f64 v[28:29], v[28:29], -v[50:51]
	v_add_f64 v[30:31], v[48:49], v[30:31]
	v_add_f64 v[34:35], v[36:37], v[54:55]
	v_mul_u32_u24_e32 v36, 6, v2
	ds_write_b128 v4, v[8:11]
	ds_write_b128 v4, v[12:15] offset:80
	ds_write_b128 v4, v[16:19] offset:160
	;; [unrolled: 1-line block ×6, first 2 shown]
	v_lshlrev_b32_e32 v36, 4, v36
	s_waitcnt lgkmcnt(0)
	s_barrier
	buffer_gl0_inv
	s_clause 0x5
	global_load_dwordx4 v[9:12], v36, s[4:5]
	global_load_dwordx4 v[13:16], v36, s[4:5] offset:16
	global_load_dwordx4 v[17:20], v36, s[4:5] offset:80
	;; [unrolled: 1-line block ×5, first 2 shown]
	v_mad_i32_i24 v8, 0xfffffe20, v3, v4
	ds_read_b128 v[33:36], v8 offset:3920
	ds_read_b128 v[37:40], v8 offset:7840
	;; [unrolled: 1-line block ×6, first 2 shown]
	ds_read_b128 v[57:60], v8
	v_mul_hi_u32 v4, 0x7507508, v0
	s_waitcnt vmcnt(0) lgkmcnt(0)
	s_barrier
	buffer_gl0_inv
	v_mad_u32_u24 v2, v4, 49, v2
	v_mul_i32_i24_e32 v2, 0x50, v2
	v_add3_u32 v2, 0, v2, v73
	v_mul_f64 v[61:62], v[35:36], v[11:12]
	v_mul_f64 v[11:12], v[33:34], v[11:12]
	;; [unrolled: 1-line block ×12, first 2 shown]
	v_fma_f64 v[33:34], v[33:34], v[9:10], v[61:62]
	v_fma_f64 v[9:10], v[35:36], v[9:10], -v[11:12]
	v_fma_f64 v[11:12], v[37:38], v[13:14], v[63:64]
	v_fma_f64 v[13:14], v[39:40], v[13:14], -v[15:16]
	;; [unrolled: 2-line block ×6, first 2 shown]
	v_add_f64 v[31:32], v[33:34], v[15:16]
	v_add_f64 v[35:36], v[9:10], v[17:18]
	;; [unrolled: 1-line block ×4, first 2 shown]
	v_add_f64 v[11:12], v[11:12], -v[19:20]
	v_add_f64 v[13:14], v[13:14], -v[21:22]
	v_add_f64 v[19:20], v[23:24], v[27:28]
	v_add_f64 v[21:22], v[25:26], v[29:30]
	v_add_f64 v[23:24], v[27:28], -v[23:24]
	v_add_f64 v[25:26], v[29:30], -v[25:26]
	;; [unrolled: 1-line block ×4, first 2 shown]
	v_add_f64 v[9:10], v[37:38], v[31:32]
	v_add_f64 v[27:28], v[39:40], v[35:36]
	v_add_f64 v[29:30], v[31:32], -v[19:20]
	v_add_f64 v[33:34], v[35:36], -v[21:22]
	;; [unrolled: 1-line block ×6, first 2 shown]
	v_add_f64 v[51:52], v[23:24], v[11:12]
	v_add_f64 v[13:14], v[25:26], v[13:14]
	v_add_f64 v[23:24], v[15:16], -v[23:24]
	v_add_f64 v[25:26], v[17:18], -v[25:26]
	;; [unrolled: 1-line block ×4, first 2 shown]
	v_add_f64 v[49:50], v[19:20], v[9:10]
	v_add_f64 v[27:28], v[21:22], v[27:28]
	v_add_f64 v[19:20], v[19:20], -v[37:38]
	v_add_f64 v[21:22], v[21:22], -v[39:40]
	v_mul_f64 v[29:30], v[29:30], s[12:13]
	v_mul_f64 v[33:34], v[33:34], s[12:13]
	;; [unrolled: 1-line block ×6, first 2 shown]
	v_add_f64 v[15:16], v[51:52], v[15:16]
	v_add_f64 v[13:14], v[13:14], v[17:18]
	v_add_f64 v[9:10], v[57:58], v[49:50]
	v_add_f64 v[11:12], v[59:60], v[27:28]
	v_mul_f64 v[37:38], v[19:20], s[14:15]
	v_mul_f64 v[39:40], v[21:22], s[14:15]
	v_fma_f64 v[17:18], v[19:20], s[14:15], v[29:30]
	v_fma_f64 v[19:20], v[21:22], s[14:15], v[33:34]
	;; [unrolled: 1-line block ×4, first 2 shown]
	v_fma_f64 v[41:42], v[45:46], s[18:19], -v[41:42]
	v_fma_f64 v[23:24], v[23:24], s[28:29], -v[53:54]
	;; [unrolled: 1-line block ×6, first 2 shown]
	v_fma_f64 v[45:46], v[49:50], s[10:11], v[9:10]
	v_fma_f64 v[27:28], v[27:28], s[10:11], v[11:12]
	v_fma_f64 v[31:32], v[31:32], s[22:23], -v[37:38]
	v_fma_f64 v[35:36], v[35:36], s[22:23], -v[39:40]
	v_fma_f64 v[37:38], v[15:16], s[20:21], v[21:22]
	v_fma_f64 v[39:40], v[13:14], s[20:21], v[51:52]
	;; [unrolled: 1-line block ×6, first 2 shown]
	v_add_f64 v[51:52], v[17:18], v[45:46]
	v_add_f64 v[53:54], v[19:20], v[27:28]
	v_add_f64 v[29:30], v[29:30], v[45:46]
	v_add_f64 v[33:34], v[33:34], v[27:28]
	v_add_f64 v[25:26], v[31:32], v[45:46]
	v_add_f64 v[27:28], v[35:36], v[27:28]
	v_add_f64 v[13:14], v[39:40], v[51:52]
	v_add_f64 v[15:16], v[53:54], -v[37:38]
	v_add_f64 v[17:18], v[49:50], v[29:30]
	v_add_f64 v[19:20], v[33:34], -v[47:48]
	v_add_f64 v[21:22], v[25:26], -v[43:44]
	v_add_f64 v[23:24], v[41:42], v[27:28]
	v_add_f64 v[25:26], v[43:44], v[25:26]
	v_add_f64 v[27:28], v[27:28], -v[41:42]
	v_add_f64 v[29:30], v[29:30], -v[49:50]
	v_add_f64 v[31:32], v[47:48], v[33:34]
	v_add_f64 v[33:34], v[51:52], -v[39:40]
	v_add_f64 v[35:36], v[37:38], v[53:54]
	ds_write_b128 v2, v[9:12]
	ds_write_b128 v2, v[13:16] offset:560
	ds_write_b128 v2, v[17:20] offset:1120
	ds_write_b128 v2, v[21:24] offset:1680
	ds_write_b128 v2, v[25:28] offset:2240
	ds_write_b128 v2, v[29:32] offset:2800
	ds_write_b128 v2, v[33:36] offset:3360
	s_waitcnt lgkmcnt(0)
	s_barrier
	buffer_gl0_inv
	s_and_saveexec_b32 s2, vcc_lo
	s_cbranch_execz .LBB0_16
; %bb.15:
	v_mul_hi_u32 v2, 0x539782a, v3
	v_mul_lo_u32 v4, 0xffffffcf, v1
	s_add_i32 s2, 0, 0x6b30
	v_mul_u32_u24_e32 v2, 49, v2
	v_sub_nc_u32_e32 v9, v3, v2
	v_mul_u32_u24_e32 v2, 6, v9
	v_add_nc_u32_e32 v3, 0x126, v9
	v_lshlrev_b32_e32 v94, 4, v2
	v_mul_lo_u32 v2, v9, v1
	v_mul_lo_u32 v1, v3, v1
	s_clause 0x1
	global_load_dwordx4 v[10:13], v94, s[4:5] offset:704
	global_load_dwordx4 v[14:17], v94, s[4:5] offset:688
	v_lshrrev_b32_e32 v3, 2, v2
	v_and_b32_e32 v18, 63, v2
	v_and_b32_e32 v19, 63, v1
	v_add_nc_u32_e32 v20, v1, v4
	v_lshrrev_b32_e32 v2, 8, v2
	v_and_b32_e32 v3, 0x3f0, v3
	v_lshl_add_u32 v22, v18, 4, 0
	v_lshrrev_b32_e32 v18, 2, v1
	v_lshrrev_b32_e32 v1, 8, v1
	;; [unrolled: 1-line block ×3, first 2 shown]
	v_add_nc_u32_e32 v3, s2, v3
	v_add_nc_u32_e32 v30, v20, v4
	v_and_b32_e32 v23, 0x3f0, v18
	v_and_b32_e32 v1, 0x3f0, v1
	;; [unrolled: 1-line block ×3, first 2 shown]
	v_lshl_add_u32 v34, v19, 4, 0
	v_and_b32_e32 v25, 63, v20
	v_lshrrev_b32_e32 v31, 8, v20
	ds_read_b128 v[18:21], v3 offset:1024
	v_add_nc_u32_e32 v3, s2, v23
	v_and_b32_e32 v35, 0x3f0, v24
	v_lshrrev_b32_e32 v36, 2, v30
	v_and_b32_e32 v37, 63, v30
	v_add_nc_u32_e32 v1, s2, v1
	v_add_nc_u32_e32 v2, s2, v2
	v_lshl_add_u32 v42, v25, 4, 0
	v_add_nc_u32_e32 v43, v30, v4
	ds_read_b128 v[22:25], v22 offset:27440
	ds_read_b128 v[26:29], v2 offset:2048
	v_and_b32_e32 v2, 0x3f0, v31
	v_lshrrev_b32_e32 v44, 8, v30
	ds_read_b128 v[30:33], v3 offset:1024
	ds_read_b128 v[38:41], v1 offset:2048
	v_add_nc_u32_e32 v3, s2, v35
	v_and_b32_e32 v50, 0x3f0, v36
	v_lshl_add_u32 v51, v37, 4, 0
	ds_read_b128 v[34:37], v34 offset:27440
	v_lshrrev_b32_e32 v54, 2, v43
	v_and_b32_e32 v55, 63, v43
	v_add_nc_u32_e32 v1, s2, v2
	v_add_nc_u32_e32 v70, v43, v4
	v_and_b32_e32 v2, 0x3f0, v44
	v_lshrrev_b32_e32 v71, 8, v43
	ds_read_b128 v[42:45], v42 offset:27440
	ds_read_b128 v[46:49], v3 offset:1024
	v_add_nc_u32_e32 v3, s2, v50
	ds_read_b128 v[50:53], v51 offset:27440
	v_and_b32_e32 v62, 0x3f0, v54
	s_waitcnt lgkmcnt(7)
	v_mul_f64 v[74:75], v[24:25], v[20:21]
	v_mul_f64 v[20:21], v[22:23], v[20:21]
	v_lshl_add_u32 v63, v55, 4, 0
	ds_read_b128 v[54:57], v1 offset:2048
	ds_read_b128 v[58:61], v3 offset:1024
	v_lshrrev_b32_e32 v72, 2, v70
	v_add_nc_u32_e32 v88, v70, v4
	v_lshrrev_b32_e32 v89, 8, v70
	v_add_nc_u32_e32 v1, s2, v62
	v_and_b32_e32 v73, 63, v70
	s_waitcnt lgkmcnt(5)
	v_mul_f64 v[76:77], v[36:37], v[32:33]
	v_mul_f64 v[32:33], v[34:35], v[32:33]
	ds_read_b128 v[62:65], v63 offset:27440
	ds_read_b128 v[66:69], v1 offset:1024
	v_add_nc_u32_e32 v1, s2, v2
	v_and_b32_e32 v2, 0x3f0, v71
	v_and_b32_e32 v3, 0x3f0, v72
	v_lshrrev_b32_e32 v91, 2, v88
	v_lshl_add_u32 v90, v73, 4, 0
	s_waitcnt lgkmcnt(5)
	v_mul_f64 v[78:79], v[44:45], v[48:49]
	v_add_nc_u32_e32 v2, s2, v2
	v_add_nc_u32_e32 v82, s2, v3
	v_mul_f64 v[48:49], v[42:43], v[48:49]
	ds_read_b128 v[70:73], v1 offset:2048
	v_fma_f64 v[74:75], v[22:23], v[18:19], -v[74:75]
	v_fma_f64 v[80:81], v[24:25], v[18:19], v[20:21]
	ds_read_b128 v[18:21], v82 offset:1024
	s_waitcnt lgkmcnt(4)
	v_mul_f64 v[82:83], v[52:53], v[60:61]
	v_mul_f64 v[60:61], v[50:51], v[60:61]
	ds_read_b128 v[22:25], v90 offset:27440
	v_fma_f64 v[76:77], v[34:35], v[30:31], -v[76:77]
	v_fma_f64 v[84:85], v[36:37], v[30:31], v[32:33]
	v_and_b32_e32 v30, 63, v88
	v_and_b32_e32 v31, 0x3f0, v89
	v_lshrrev_b32_e32 v32, 8, v88
	v_and_b32_e32 v33, 0x3f0, v91
	s_waitcnt lgkmcnt(3)
	v_mul_f64 v[86:87], v[64:65], v[68:69]
	v_lshl_add_u32 v34, v30, 4, 0
	v_add_nc_u32_e32 v30, s2, v31
	v_and_b32_e32 v35, 0x3f0, v32
	v_add_nc_u32_e32 v90, s2, v33
	v_mul_f64 v[68:69], v[62:63], v[68:69]
	v_fma_f64 v[78:79], v[42:43], v[46:47], -v[78:79]
	ds_read_b128 v[30:33], v30 offset:2048
	ds_read_b128 v[1:4], v2 offset:2048
	v_fma_f64 v[88:89], v[44:45], v[46:47], v[48:49]
	v_add_nc_u32_e32 v46, s2, v35
	ds_read_b128 v[34:37], v34 offset:27440
	ds_read_b128 v[42:45], v90 offset:1024
	v_fma_f64 v[82:83], v[50:51], v[58:59], -v[82:83]
	v_fma_f64 v[58:59], v[52:53], v[58:59], v[60:61]
	s_waitcnt lgkmcnt(4)
	v_mul_f64 v[60:61], v[24:25], v[20:21]
	v_mul_f64 v[20:21], v[22:23], v[20:21]
	global_load_dwordx4 v[50:53], v94, s[4:5] offset:736
	ds_read_b128 v[46:49], v46 offset:2048
	v_fma_f64 v[62:63], v[62:63], v[66:67], -v[86:87]
	v_fma_f64 v[64:65], v[64:65], v[66:67], v[68:69]
	s_waitcnt lgkmcnt(1)
	v_mul_f64 v[66:67], v[36:37], v[44:45]
	v_mul_f64 v[44:45], v[34:35], v[44:45]
	v_fma_f64 v[60:61], v[22:23], v[18:19], -v[60:61]
	v_fma_f64 v[68:69], v[24:25], v[18:19], v[20:21]
	ds_read_b128 v[18:21], v8 offset:11760
	ds_read_b128 v[22:25], v8 offset:7840
	v_fma_f64 v[66:67], v[34:35], v[42:43], -v[66:67]
	v_fma_f64 v[42:43], v[36:37], v[42:43], v[44:45]
	global_load_dwordx4 v[34:37], v94, s[4:5] offset:720
	s_waitcnt vmcnt(3) lgkmcnt(1)
	v_mul_f64 v[44:45], v[20:21], v[12:13]
	v_mul_f64 v[12:13], v[18:19], v[12:13]
	v_fma_f64 v[44:45], v[18:19], v[10:11], v[44:45]
	v_fma_f64 v[86:87], v[20:21], v[10:11], -v[12:13]
	global_load_dwordx4 v[10:13], v94, s[4:5] offset:672
	s_waitcnt vmcnt(3) lgkmcnt(0)
	v_mul_f64 v[18:19], v[24:25], v[16:17]
	v_mul_f64 v[16:17], v[22:23], v[16:17]
	v_fma_f64 v[90:91], v[22:23], v[14:15], v[18:19]
	v_fma_f64 v[92:93], v[24:25], v[14:15], -v[16:17]
	global_load_dwordx4 v[14:17], v94, s[4:5] offset:752
	ds_read_b128 v[18:21], v8 offset:19600
	s_waitcnt vmcnt(3) lgkmcnt(0)
	v_mul_f64 v[22:23], v[20:21], v[52:53]
	v_fma_f64 v[94:95], v[18:19], v[50:51], v[22:23]
	v_mul_f64 v[18:19], v[18:19], v[52:53]
	v_fma_f64 v[50:51], v[20:21], v[50:51], -v[18:19]
	ds_read_b128 v[18:21], v8 offset:3920
	ds_read_b128 v[22:25], v8
	s_waitcnt vmcnt(1) lgkmcnt(1)
	v_mul_f64 v[52:53], v[20:21], v[12:13]
	v_mul_f64 v[12:13], v[18:19], v[12:13]
	v_fma_f64 v[52:53], v[18:19], v[10:11], v[52:53]
	v_fma_f64 v[18:19], v[20:21], v[10:11], -v[12:13]
	ds_read_b128 v[10:13], v8 offset:23520
	s_waitcnt vmcnt(0) lgkmcnt(0)
	v_mul_f64 v[20:21], v[12:13], v[16:17]
	v_fma_f64 v[20:21], v[10:11], v[14:15], v[20:21]
	v_mul_f64 v[10:11], v[10:11], v[16:17]
	v_fma_f64 v[11:12], v[12:13], v[14:15], -v[10:11]
	v_mul_f64 v[13:14], v[80:81], v[28:29]
	v_mul_f64 v[15:16], v[74:75], v[28:29]
	;; [unrolled: 1-line block ×3, first 2 shown]
	v_mul_hi_u32 v10, 0x10b7e6f, v0
	v_mov_b32_e32 v0, v6
	v_mad_u64_u32 v[6:7], null, s3, v7, v[0:1]
	v_mad_u32_u24 v96, 0x157, v10, v9
	ds_read_b128 v[7:10], v8 offset:15680
	s_lshl_b64 s[2:3], s[6:7], 4
	v_lshlrev_b64 v[5:6], 4, v[5:6]
	v_fma_f64 v[13:14], v[26:27], v[74:75], -v[13:14]
	v_fma_f64 v[15:16], v[26:27], v[80:81], v[15:16]
	v_mul_f64 v[26:27], v[84:85], v[40:41]
	v_fma_f64 v[28:29], v[38:39], v[84:85], v[28:29]
	v_mul_f64 v[40:41], v[88:89], v[56:57]
	v_mul_f64 v[56:57], v[78:79], v[56:57]
	v_add_nc_u32_e32 v81, 0x93, v96
	v_add_f64 v[84:85], v[90:91], -v[94:95]
	v_fma_f64 v[26:27], v[38:39], v[76:77], -v[26:27]
	v_mul_f64 v[38:39], v[58:59], v[72:73]
	v_mul_f64 v[72:73], v[82:83], v[72:73]
	v_fma_f64 v[40:41], v[54:55], v[78:79], -v[40:41]
	v_add_nc_u32_e32 v78, 49, v96
	v_add_nc_u32_e32 v79, 0x62, v96
	v_fma_f64 v[54:55], v[54:55], v[88:89], v[56:57]
	v_mad_u64_u32 v[56:57], null, s0, v96, 0
	v_mad_u64_u32 v[74:75], null, s0, v78, 0
	v_mad_u64_u32 v[76:77], null, s0, v79, 0
	v_mov_b32_e32 v0, v57
	v_mov_b32_e32 v17, v75
	;; [unrolled: 1-line block ×3, first 2 shown]
	v_mad_u64_u32 v[77:78], null, s1, v78, v[17:18]
	v_fma_f64 v[58:59], v[70:71], v[58:59], v[72:73]
	v_fma_f64 v[38:39], v[70:71], v[82:83], -v[38:39]
	v_mad_u64_u32 v[70:71], null, s0, v81, 0
	v_mad_u64_u32 v[72:73], null, s1, v96, v[0:1]
	v_add_nc_u32_e32 v17, 0xc4, v96
	v_mov_b32_e32 v75, v77
	v_add_f64 v[82:83], v[92:93], v[50:51]
	v_add_f64 v[50:51], v[92:93], -v[50:51]
	v_mov_b32_e32 v0, v71
	v_lshlrev_b64 v[74:75], 4, v[74:75]
	v_mad_u64_u32 v[78:79], null, s1, v79, v[57:58]
	s_waitcnt lgkmcnt(0)
	v_mul_f64 v[79:80], v[9:10], v[36:37]
	v_mul_f64 v[36:37], v[7:8], v[36:37]
	v_mov_b32_e32 v57, v72
	v_mad_u64_u32 v[71:72], null, s1, v81, v[0:1]
	v_mad_u64_u32 v[72:73], null, s0, v17, 0
	v_mov_b32_e32 v77, v78
	v_lshlrev_b64 v[56:57], 4, v[56:57]
	v_lshlrev_b64 v[70:71], 4, v[70:71]
	;; [unrolled: 1-line block ×3, first 2 shown]
	v_mov_b32_e32 v0, v73
	v_fma_f64 v[7:8], v[7:8], v[34:35], v[79:80]
	v_mad_u64_u32 v[78:79], null, s1, v17, v[0:1]
	v_add_nc_u32_e32 v17, 0xf5, v96
	v_fma_f64 v[9:10], v[9:10], v[34:35], -v[36:37]
	v_add_f64 v[34:35], v[90:91], v[94:95]
	v_add_f64 v[36:37], v[52:53], v[20:21]
	v_add_f64 v[20:21], v[52:53], -v[20:21]
	v_mov_b32_e32 v73, v78
	v_mad_u64_u32 v[78:79], null, s0, v17, 0
	v_lshlrev_b64 v[72:73], 4, v[72:73]
	v_mov_b32_e32 v0, v79
	v_add_f64 v[80:81], v[44:45], v[7:8]
	v_add_f64 v[7:8], v[7:8], -v[44:45]
	v_add_f64 v[44:45], v[18:19], v[11:12]
	v_mad_u64_u32 v[88:89], null, s1, v17, v[0:1]
	v_add_f64 v[11:12], v[18:19], -v[11:12]
	v_add_f64 v[52:53], v[34:35], v[36:37]
	v_mov_b32_e32 v79, v88
	v_add_f64 v[88:89], v[86:87], v[9:10]
	v_add_f64 v[9:10], v[9:10], -v[86:87]
	v_lshlrev_b64 v[78:79], 4, v[78:79]
	v_add_f64 v[17:18], v[80:81], -v[34:35]
	v_add_f64 v[90:91], v[7:8], v[84:85]
	v_add_f64 v[86:87], v[82:83], v[44:45]
	v_add_f64 v[34:35], v[34:35], -v[36:37]
	v_add_f64 v[36:37], v[36:37], -v[80:81]
	v_add_f64 v[52:53], v[80:81], v[52:53]
	v_add_f64 v[80:81], v[88:89], -v[82:83]
	v_add_f64 v[82:83], v[82:83], -v[44:45]
	;; [unrolled: 1-line block ×4, first 2 shown]
	v_add_f64 v[86:87], v[88:89], v[86:87]
	v_add_f64 v[88:89], v[7:8], -v[84:85]
	v_add_f64 v[7:8], v[20:21], -v[7:8]
	;; [unrolled: 1-line block ×3, first 2 shown]
	v_add_f64 v[19:20], v[90:91], v[20:21]
	v_add_f64 v[90:91], v[9:10], v[50:51]
	v_add_f64 v[9:10], v[11:12], -v[9:10]
	v_add_f64 v[50:51], v[50:51], -v[11:12]
	v_mul_f64 v[36:37], v[36:37], s[12:13]
	v_add_f64 v[21:22], v[22:23], v[52:53]
	v_add_f64 v[23:24], v[24:25], v[86:87]
	v_mul_f64 v[88:89], v[88:89], s[16:17]
	v_add_nc_u32_e32 v25, 0x126, v96
	v_add_f64 v[11:12], v[90:91], v[11:12]
	v_mul_f64 v[90:91], v[84:85], s[18:19]
	v_fma_f64 v[52:53], v[52:53], s[10:11], v[21:22]
	v_fma_f64 v[86:87], v[86:87], s[10:11], v[23:24]
	v_fma_f64 v[84:85], v[84:85], s[18:19], -v[88:89]
	v_fma_f64 v[88:89], v[7:8], s[26:27], v[88:89]
	v_fma_f64 v[7:8], v[7:8], s[28:29], -v[90:91]
	v_mul_f64 v[90:91], v[92:93], s[16:17]
	v_mul_f64 v[92:93], v[50:51], s[18:19]
	v_fma_f64 v[84:85], v[19:20], s[20:21], v[84:85]
	v_fma_f64 v[7:8], v[19:20], s[20:21], v[7:8]
	v_fma_f64 v[50:51], v[50:51], s[18:19], -v[90:91]
	v_fma_f64 v[90:91], v[9:10], s[26:27], v[90:91]
	v_fma_f64 v[9:10], v[9:10], s[28:29], -v[92:93]
	v_mul_f64 v[92:93], v[17:18], s[14:15]
	v_fma_f64 v[17:18], v[17:18], s[14:15], v[36:37]
	v_fma_f64 v[50:51], v[11:12], s[20:21], v[50:51]
	;; [unrolled: 1-line block ×3, first 2 shown]
	v_fma_f64 v[92:93], v[34:35], s[22:23], -v[92:93]
	v_fma_f64 v[34:35], v[34:35], s[24:25], -v[36:37]
	v_mul_f64 v[36:37], v[44:45], s[12:13]
	v_mul_f64 v[44:45], v[80:81], s[14:15]
	v_add_f64 v[17:18], v[17:18], v[52:53]
	v_add_f64 v[34:35], v[34:35], v[52:53]
	v_fma_f64 v[80:81], v[80:81], s[14:15], v[36:37]
	v_fma_f64 v[44:45], v[82:83], s[22:23], -v[44:45]
	v_fma_f64 v[36:37], v[82:83], s[24:25], -v[36:37]
	v_fma_f64 v[82:83], v[19:20], s[20:21], v[88:89]
	v_fma_f64 v[88:89], v[11:12], s[20:21], v[90:91]
	v_mul_f64 v[11:12], v[62:63], v[3:4]
	v_add_f64 v[90:91], v[92:93], v[52:53]
	v_mul_f64 v[52:53], v[60:61], v[32:33]
	v_mad_u64_u32 v[19:20], null, s0, v25, 0
	s_add_u32 s0, s8, s2
	s_addc_u32 s2, s9, s3
	v_add_co_u32 v94, vcc_lo, s0, v5
	v_add_co_ci_u32_e32 v95, vcc_lo, s2, v6, vcc_lo
	v_mov_b32_e32 v0, v20
	v_mul_f64 v[3:4], v[64:65], v[3:4]
	v_add_co_u32 v56, vcc_lo, v94, v56
	v_add_co_ci_u32_e32 v57, vcc_lo, v95, v57, vcc_lo
	v_add_f64 v[80:81], v[80:81], v[86:87]
	v_add_f64 v[44:45], v[44:45], v[86:87]
	;; [unrolled: 1-line block ×3, first 2 shown]
	v_mul_f64 v[86:87], v[66:67], v[48:49]
	v_mad_u64_u32 v[5:6], null, s1, v25, v[0:1]
	v_mul_f64 v[48:49], v[42:43], v[48:49]
	v_add_co_u32 v74, vcc_lo, v94, v74
	v_add_co_ci_u32_e32 v75, vcc_lo, v95, v75, vcc_lo
	v_add_co_u32 v76, vcc_lo, v94, v76
	v_mov_b32_e32 v20, v5
	v_fma_f64 v[5:6], v[1:2], v[64:65], v[11:12]
	v_mul_f64 v[11:12], v[68:69], v[32:33]
	v_fma_f64 v[32:33], v[30:31], v[68:69], v[52:53]
	v_add_f64 v[52:53], v[9:10], v[34:35]
	v_add_f64 v[34:35], v[34:35], -v[9:10]
	v_add_f64 v[9:10], v[17:18], -v[88:89]
	v_add_f64 v[64:65], v[88:89], v[17:18]
	v_add_co_ci_u32_e32 v77, vcc_lo, v95, v77, vcc_lo
	v_add_f64 v[17:18], v[82:83], v[80:81]
	v_add_f64 v[68:69], v[80:81], -v[82:83]
	v_fma_f64 v[42:43], v[46:47], v[42:43], v[86:87]
	v_add_f64 v[80:81], v[84:85], v[44:45]
	v_add_f64 v[82:83], v[90:91], -v[50:51]
	v_add_f64 v[44:45], v[44:45], -v[84:85]
	;; [unrolled: 1-line block ×3, first 2 shown]
	v_add_f64 v[50:51], v[50:51], v[90:91]
	v_add_f64 v[36:37], v[7:8], v[36:37]
	v_lshlrev_b64 v[86:87], 4, v[19:20]
	v_fma_f64 v[19:20], v[1:2], v[62:63], -v[3:4]
	v_mul_f64 v[0:1], v[21:22], v[15:16]
	v_mul_f64 v[7:8], v[23:24], v[15:16]
	v_fma_f64 v[46:47], v[46:47], v[66:67], -v[48:49]
	v_fma_f64 v[30:31], v[30:31], v[60:61], -v[11:12]
	v_mul_f64 v[60:61], v[52:53], v[32:33]
	v_mul_f64 v[66:67], v[34:35], v[54:55]
	;; [unrolled: 1-line block ×12, first 2 shown]
	v_fma_f64 v[2:3], v[23:24], v[13:14], -v[0:1]
	v_fma_f64 v[0:1], v[21:22], v[13:14], v[7:8]
	v_fma_f64 v[22:23], v[36:37], v[40:41], -v[66:67]
	v_fma_f64 v[6:7], v[17:18], v[26:27], -v[11:12]
	v_fma_f64 v[4:5], v[9:10], v[26:27], v[15:16]
	v_fma_f64 v[14:15], v[84:85], v[30:31], -v[60:61]
	v_fma_f64 v[8:9], v[82:83], v[19:20], v[48:49]
	v_fma_f64 v[10:11], v[80:81], v[19:20], -v[28:29]
	v_fma_f64 v[18:19], v[68:69], v[46:47], -v[62:63]
	v_fma_f64 v[16:17], v[64:65], v[46:47], v[42:43]
	v_fma_f64 v[12:13], v[52:53], v[30:31], v[32:33]
	v_fma_f64 v[26:27], v[44:45], v[38:39], -v[88:89]
	v_fma_f64 v[24:25], v[50:51], v[38:39], v[58:59]
	v_fma_f64 v[20:21], v[34:35], v[40:41], v[54:55]
	v_add_co_u32 v28, vcc_lo, v94, v70
	v_add_co_ci_u32_e32 v29, vcc_lo, v95, v71, vcc_lo
	v_add_co_u32 v30, vcc_lo, v94, v72
	v_add_co_ci_u32_e32 v31, vcc_lo, v95, v73, vcc_lo
	;; [unrolled: 2-line block ×4, first 2 shown]
	global_store_dwordx4 v[56:57], v[0:3], off
	global_store_dwordx4 v[74:75], v[16:19], off
	;; [unrolled: 1-line block ×7, first 2 shown]
.LBB0_16:
	s_endpgm
	.section	.rodata,"a",@progbits
	.p2align	6, 0x0
	.amdhsa_kernel fft_rtc_back_len343_factors_7_7_7_wgs_245_tpt_49_dp_ip_CI_sbcc_twdbase6_3step_dirReg_intrinsicRead
		.amdhsa_group_segment_fixed_size 0
		.amdhsa_private_segment_fixed_size 0
		.amdhsa_kernarg_size 96
		.amdhsa_user_sgpr_count 6
		.amdhsa_user_sgpr_private_segment_buffer 1
		.amdhsa_user_sgpr_dispatch_ptr 0
		.amdhsa_user_sgpr_queue_ptr 0
		.amdhsa_user_sgpr_kernarg_segment_ptr 1
		.amdhsa_user_sgpr_dispatch_id 0
		.amdhsa_user_sgpr_flat_scratch_init 0
		.amdhsa_user_sgpr_private_segment_size 0
		.amdhsa_wavefront_size32 1
		.amdhsa_uses_dynamic_stack 0
		.amdhsa_system_sgpr_private_segment_wavefront_offset 0
		.amdhsa_system_sgpr_workgroup_id_x 1
		.amdhsa_system_sgpr_workgroup_id_y 0
		.amdhsa_system_sgpr_workgroup_id_z 0
		.amdhsa_system_sgpr_workgroup_info 0
		.amdhsa_system_vgpr_workitem_id 0
		.amdhsa_next_free_vgpr 97
		.amdhsa_next_free_sgpr 44
		.amdhsa_reserve_vcc 1
		.amdhsa_reserve_flat_scratch 0
		.amdhsa_float_round_mode_32 0
		.amdhsa_float_round_mode_16_64 0
		.amdhsa_float_denorm_mode_32 3
		.amdhsa_float_denorm_mode_16_64 3
		.amdhsa_dx10_clamp 1
		.amdhsa_ieee_mode 1
		.amdhsa_fp16_overflow 0
		.amdhsa_workgroup_processor_mode 1
		.amdhsa_memory_ordered 1
		.amdhsa_forward_progress 0
		.amdhsa_shared_vgpr_count 0
		.amdhsa_exception_fp_ieee_invalid_op 0
		.amdhsa_exception_fp_denorm_src 0
		.amdhsa_exception_fp_ieee_div_zero 0
		.amdhsa_exception_fp_ieee_overflow 0
		.amdhsa_exception_fp_ieee_underflow 0
		.amdhsa_exception_fp_ieee_inexact 0
		.amdhsa_exception_int_div_zero 0
	.end_amdhsa_kernel
	.text
.Lfunc_end0:
	.size	fft_rtc_back_len343_factors_7_7_7_wgs_245_tpt_49_dp_ip_CI_sbcc_twdbase6_3step_dirReg_intrinsicRead, .Lfunc_end0-fft_rtc_back_len343_factors_7_7_7_wgs_245_tpt_49_dp_ip_CI_sbcc_twdbase6_3step_dirReg_intrinsicRead
                                        ; -- End function
	.section	.AMDGPU.csdata,"",@progbits
; Kernel info:
; codeLenInByte = 6628
; NumSgprs: 46
; NumVgprs: 97
; ScratchSize: 0
; MemoryBound: 0
; FloatMode: 240
; IeeeMode: 1
; LDSByteSize: 0 bytes/workgroup (compile time only)
; SGPRBlocks: 5
; VGPRBlocks: 12
; NumSGPRsForWavesPerEU: 46
; NumVGPRsForWavesPerEU: 97
; Occupancy: 9
; WaveLimiterHint : 1
; COMPUTE_PGM_RSRC2:SCRATCH_EN: 0
; COMPUTE_PGM_RSRC2:USER_SGPR: 6
; COMPUTE_PGM_RSRC2:TRAP_HANDLER: 0
; COMPUTE_PGM_RSRC2:TGID_X_EN: 1
; COMPUTE_PGM_RSRC2:TGID_Y_EN: 0
; COMPUTE_PGM_RSRC2:TGID_Z_EN: 0
; COMPUTE_PGM_RSRC2:TIDIG_COMP_CNT: 0
	.text
	.p2alignl 6, 3214868480
	.fill 48, 4, 3214868480
	.type	__hip_cuid_7b11674da76ef502,@object ; @__hip_cuid_7b11674da76ef502
	.section	.bss,"aw",@nobits
	.globl	__hip_cuid_7b11674da76ef502
__hip_cuid_7b11674da76ef502:
	.byte	0                               ; 0x0
	.size	__hip_cuid_7b11674da76ef502, 1

	.ident	"AMD clang version 19.0.0git (https://github.com/RadeonOpenCompute/llvm-project roc-6.4.0 25133 c7fe45cf4b819c5991fe208aaa96edf142730f1d)"
	.section	".note.GNU-stack","",@progbits
	.addrsig
	.addrsig_sym __hip_cuid_7b11674da76ef502
	.amdgpu_metadata
---
amdhsa.kernels:
  - .args:
      - .actual_access:  read_only
        .address_space:  global
        .offset:         0
        .size:           8
        .value_kind:     global_buffer
      - .address_space:  global
        .offset:         8
        .size:           8
        .value_kind:     global_buffer
      - .offset:         16
        .size:           8
        .value_kind:     by_value
      - .actual_access:  read_only
        .address_space:  global
        .offset:         24
        .size:           8
        .value_kind:     global_buffer
      - .actual_access:  read_only
        .address_space:  global
        .offset:         32
        .size:           8
        .value_kind:     global_buffer
      - .offset:         40
        .size:           8
        .value_kind:     by_value
      - .actual_access:  read_only
        .address_space:  global
        .offset:         48
        .size:           8
        .value_kind:     global_buffer
      - .actual_access:  read_only
        .address_space:  global
        .offset:         56
        .size:           8
        .value_kind:     global_buffer
      - .offset:         64
        .size:           4
        .value_kind:     by_value
      - .actual_access:  read_only
        .address_space:  global
        .offset:         72
        .size:           8
        .value_kind:     global_buffer
      - .actual_access:  read_only
        .address_space:  global
        .offset:         80
        .size:           8
        .value_kind:     global_buffer
      - .address_space:  global
        .offset:         88
        .size:           8
        .value_kind:     global_buffer
    .group_segment_fixed_size: 0
    .kernarg_segment_align: 8
    .kernarg_segment_size: 96
    .language:       OpenCL C
    .language_version:
      - 2
      - 0
    .max_flat_workgroup_size: 245
    .name:           fft_rtc_back_len343_factors_7_7_7_wgs_245_tpt_49_dp_ip_CI_sbcc_twdbase6_3step_dirReg_intrinsicRead
    .private_segment_fixed_size: 0
    .sgpr_count:     46
    .sgpr_spill_count: 0
    .symbol:         fft_rtc_back_len343_factors_7_7_7_wgs_245_tpt_49_dp_ip_CI_sbcc_twdbase6_3step_dirReg_intrinsicRead.kd
    .uniform_work_group_size: 1
    .uses_dynamic_stack: false
    .vgpr_count:     97
    .vgpr_spill_count: 0
    .wavefront_size: 32
    .workgroup_processor_mode: 1
amdhsa.target:   amdgcn-amd-amdhsa--gfx1030
amdhsa.version:
  - 1
  - 2
...

	.end_amdgpu_metadata
